;; amdgpu-corpus repo=ROCm/rocFFT kind=compiled arch=gfx906 opt=O3
	.text
	.amdgcn_target "amdgcn-amd-amdhsa--gfx906"
	.amdhsa_code_object_version 6
	.protected	bluestein_single_fwd_len324_dim1_sp_op_CI_CI ; -- Begin function bluestein_single_fwd_len324_dim1_sp_op_CI_CI
	.globl	bluestein_single_fwd_len324_dim1_sp_op_CI_CI
	.p2align	8
	.type	bluestein_single_fwd_len324_dim1_sp_op_CI_CI,@function
bluestein_single_fwd_len324_dim1_sp_op_CI_CI: ; @bluestein_single_fwd_len324_dim1_sp_op_CI_CI
; %bb.0:
	s_load_dwordx4 s[16:19], s[4:5], 0x28
	v_mul_u32_u24_e32 v1, 0x4be, v0
	v_add_u32_sdwa v28, s6, v1 dst_sel:DWORD dst_unused:UNUSED_PAD src0_sel:DWORD src1_sel:WORD_1
	v_mov_b32_e32 v29, 0
	s_waitcnt lgkmcnt(0)
	v_cmp_gt_u64_e32 vcc, s[16:17], v[28:29]
	s_and_saveexec_b64 s[0:1], vcc
	s_cbranch_execz .LBB0_2
; %bb.1:
	s_load_dwordx4 s[0:3], s[4:5], 0x18
	s_load_dwordx4 s[8:11], s[4:5], 0x0
	v_mov_b32_e32 v2, 54
	v_mul_lo_u16_sdwa v1, v1, v2 dst_sel:DWORD dst_unused:UNUSED_PAD src0_sel:WORD_1 src1_sel:DWORD
	v_sub_u16_e32 v42, v0, v1
	s_waitcnt lgkmcnt(0)
	s_load_dwordx4 s[12:15], s[0:1], 0x0
	s_add_u32 s6, s8, 0xa20
	s_addc_u32 s7, s9, 0
	v_lshlrev_b32_e32 v43, 3, v42
	v_mov_b32_e32 v41, 0xfffffaf0
	s_waitcnt lgkmcnt(0)
	v_mad_u64_u32 v[0:1], s[0:1], s14, v28, 0
	v_mad_u64_u32 v[2:3], s[0:1], s12, v42, 0
	global_load_dwordx2 v[33:34], v43, s[8:9]
	v_add_u32_e32 v44, 0x400, v43
	v_mad_u64_u32 v[4:5], s[0:1], s15, v28, v[1:2]
	s_mul_i32 s15, s12, 0x360
	v_add_u32_e32 v52, 54, v42
	v_mad_u64_u32 v[5:6], s[0:1], s13, v42, v[3:4]
	v_mov_b32_e32 v1, v4
	v_lshlrev_b64 v[0:1], 3, v[0:1]
	v_mov_b32_e32 v3, v5
	v_mov_b32_e32 v4, s19
	v_add_co_u32_e32 v5, vcc, s18, v0
	v_addc_co_u32_e32 v4, vcc, v4, v1, vcc
	v_lshlrev_b64 v[0:1], 3, v[2:3]
	s_mul_i32 s0, s13, 0x360
	v_add_co_u32_e32 v0, vcc, v5, v0
	s_mul_hi_u32 s1, s12, 0x360
	v_addc_co_u32_e32 v1, vcc, v4, v1, vcc
	s_add_i32 s14, s1, s0
	global_load_dwordx2 v[2:3], v[0:1], off
	v_mov_b32_e32 v4, s14
	v_add_co_u32_e32 v0, vcc, s15, v0
	v_addc_co_u32_e32 v1, vcc, v1, v4, vcc
	v_mov_b32_e32 v5, s14
	v_add_co_u32_e32 v4, vcc, s15, v0
	v_addc_co_u32_e32 v5, vcc, v1, v5, vcc
	global_load_dwordx2 v[6:7], v[0:1], off
	global_load_dwordx2 v[8:9], v[4:5], off
	global_load_dwordx2 v[29:30], v43, s[8:9] offset:1728
	v_mad_u64_u32 v[0:1], s[0:1], s12, v41, v[4:5]
	s_mul_i32 s0, s13, 0xfffffaf0
	s_sub_i32 s0, s0, s12
	global_load_dwordx2 v[35:36], v43, s[8:9] offset:864
	v_add_u32_e32 v1, s0, v1
	global_load_dwordx2 v[4:5], v[0:1], off
	global_load_dwordx2 v[26:27], v43, s[8:9] offset:1296
	global_load_dwordx2 v[31:32], v43, s[8:9] offset:432
	v_mov_b32_e32 v10, s14
	v_add_co_u32_e32 v0, vcc, s15, v0
	v_addc_co_u32_e32 v1, vcc, v1, v10, vcc
	global_load_dwordx2 v[10:11], v[0:1], off
	v_mov_b32_e32 v12, s14
	v_add_co_u32_e32 v0, vcc, s15, v0
	v_addc_co_u32_e32 v1, vcc, v1, v12, vcc
	global_load_dwordx2 v[24:25], v43, s[8:9] offset:2160
	global_load_dwordx2 v[12:13], v[0:1], off
	s_load_dwordx4 s[0:3], s[2:3], 0x0
	s_movk_i32 s12, 0xab
	s_load_dwordx2 s[4:5], s[4:5], 0x38
	s_waitcnt vmcnt(10)
	v_mul_f32_e32 v1, v2, v34
	v_mul_f32_e32 v0, v3, v34
	v_fma_f32 v1, v3, v33, -v1
	v_fmac_f32_e32 v0, v2, v33
	s_waitcnt vmcnt(6)
	v_mul_f32_e32 v3, v6, v36
	v_mul_f32_e32 v2, v7, v36
	v_fma_f32 v3, v7, v35, -v3
	v_fmac_f32_e32 v2, v6, v35
	v_mul_f32_e32 v6, v9, v30
	v_mul_f32_e32 v7, v8, v30
	ds_write_b64 v43, v[2:3] offset:864
	s_waitcnt vmcnt(3)
	v_mul_f32_e32 v2, v5, v32
	v_mul_f32_e32 v3, v4, v32
	v_fmac_f32_e32 v6, v8, v29
	v_fma_f32 v7, v9, v29, -v7
	v_fmac_f32_e32 v2, v4, v31
	v_fma_f32 v3, v5, v31, -v3
	ds_write_b64 v43, v[6:7] offset:1728
	s_waitcnt vmcnt(2)
	v_mul_f32_e32 v4, v11, v27
	v_mul_f32_e32 v5, v10, v27
	ds_write2_b64 v43, v[0:1], v[2:3] offset1:54
	s_waitcnt vmcnt(0)
	v_mul_f32_e32 v0, v13, v25
	v_mul_f32_e32 v1, v12, v25
	v_fmac_f32_e32 v4, v10, v26
	v_fma_f32 v5, v11, v26, -v5
	v_fmac_f32_e32 v0, v12, v24
	v_fma_f32 v1, v13, v24, -v1
	ds_write_b64 v43, v[4:5] offset:1296
	ds_write_b64 v43, v[0:1] offset:2160
	s_waitcnt lgkmcnt(0)
	; wave barrier
	s_waitcnt lgkmcnt(0)
	ds_read2_b64 v[0:3], v43 offset1:54
	ds_read2_b64 v[4:7], v43 offset0:108 offset1:162
	ds_read2_b64 v[8:11], v44 offset0:88 offset1:142
	s_waitcnt lgkmcnt(0)
	; wave barrier
	s_waitcnt lgkmcnt(0)
	v_add_f32_e32 v18, v2, v6
	v_add_f32_e32 v13, v4, v8
	;; [unrolled: 1-line block ×4, first 2 shown]
	v_sub_f32_e32 v14, v5, v9
	v_add_f32_e32 v15, v1, v5
	v_sub_f32_e32 v17, v4, v8
	v_add_f32_e32 v19, v6, v10
	v_sub_f32_e32 v23, v6, v10
	v_add_f32_e32 v6, v18, v10
	v_fma_f32 v0, -0.5, v13, v0
	v_fma_f32 v1, -0.5, v16, v1
	v_mul_lo_u16_e32 v10, 3, v42
	v_add_f32_e32 v4, v12, v8
	v_add_f32_e32 v5, v15, v9
	v_mov_b32_e32 v8, v0
	v_mov_b32_e32 v9, v1
	v_lshlrev_b32_e32 v45, 3, v10
	v_fmac_f32_e32 v0, 0xbf5db3d7, v14
	v_fmac_f32_e32 v1, 0x3f5db3d7, v17
	;; [unrolled: 1-line block ×4, first 2 shown]
	v_fma_f32 v2, -0.5, v19, v2
	ds_write_b64 v45, v[0:1] offset:16
	v_mul_u32_u24_e32 v0, 3, v52
	v_sub_f32_e32 v20, v7, v11
	ds_write2_b64 v45, v[4:5], v[8:9] offset1:1
	v_mov_b32_e32 v4, v2
	v_lshlrev_b32_e32 v46, 3, v0
	v_mul_lo_u16_sdwa v0, v42, s12 dst_sel:DWORD dst_unused:UNUSED_PAD src0_sel:BYTE_0 src1_sel:DWORD
	v_fmac_f32_e32 v4, 0x3f5db3d7, v20
	v_fmac_f32_e32 v2, 0xbf5db3d7, v20
	v_lshrrev_b16_e32 v20, 9, v0
	v_mul_lo_u16_e32 v0, 3, v20
	v_add_f32_e32 v21, v3, v7
	v_sub_u16_e32 v0, v42, v0
	v_add_f32_e32 v22, v7, v11
	v_add_f32_e32 v7, v21, v11
	v_and_b32_e32 v21, 0xff, v0
	v_mad_u64_u32 v[8:9], s[12:13], v21, 40, s[10:11]
	v_fmac_f32_e32 v3, -0.5, v22
	v_mov_b32_e32 v5, v3
	v_fmac_f32_e32 v5, 0xbf5db3d7, v23
	v_fmac_f32_e32 v3, 0x3f5db3d7, v23
	ds_write2_b64 v46, v[6:7], v[4:5] offset1:1
	ds_write_b64 v46, v[2:3] offset:16
	s_waitcnt lgkmcnt(0)
	; wave barrier
	s_waitcnt lgkmcnt(0)
	global_load_dwordx4 v[0:3], v[8:9], off
	global_load_dwordx4 v[4:7], v[8:9], off offset:16
	global_load_dwordx2 v[37:38], v[8:9], off offset:32
	ds_read2_b64 v[8:11], v43 offset0:108 offset1:162
	ds_read2_b64 v[12:15], v44 offset0:88 offset1:142
	ds_read2_b64 v[16:19], v43 offset1:54
	s_waitcnt lgkmcnt(0)
	; wave barrier
	s_waitcnt vmcnt(2) lgkmcnt(0)
	v_mul_f32_e32 v53, v18, v1
	s_waitcnt vmcnt(1)
	v_mul_f32_e32 v40, v10, v5
	s_waitcnt vmcnt(0)
	v_mul_f32_e32 v50, v14, v38
	v_mul_f32_e32 v23, v8, v3
	;; [unrolled: 1-line block ×6, first 2 shown]
	v_fmac_f32_e32 v40, v11, v4
	v_fmac_f32_e32 v50, v15, v37
	;; [unrolled: 1-line block ×3, first 2 shown]
	v_mul_f32_e32 v22, v9, v3
	v_mul_f32_e32 v51, v19, v1
	v_fmac_f32_e32 v23, v9, v2
	v_fma_f32 v9, v10, v4, -v39
	v_fma_f32 v10, v12, v6, -v47
	v_fmac_f32_e32 v48, v13, v6
	v_fma_f32 v11, v14, v37, -v49
	v_sub_f32_e32 v39, v40, v50
	v_add_f32_e32 v47, v53, v40
	v_add_f32_e32 v40, v40, v50
	v_fma_f32 v8, v8, v2, -v22
	v_fma_f32 v12, v18, v0, -v51
	v_add_f32_e32 v14, v23, v48
	v_add_f32_e32 v18, v17, v23
	v_sub_f32_e32 v22, v23, v48
	v_add_f32_e32 v23, v9, v11
	v_fmac_f32_e32 v53, -0.5, v40
	v_add_f32_e32 v13, v8, v10
	v_add_f32_e32 v15, v16, v8
	v_sub_f32_e32 v19, v8, v10
	v_add_f32_e32 v8, v12, v9
	v_sub_f32_e32 v49, v9, v11
	v_fmac_f32_e32 v12, -0.5, v23
	v_mov_b32_e32 v9, v53
	v_fma_f32 v13, -0.5, v13, v16
	v_add_f32_e32 v16, v18, v48
	v_add_f32_e32 v18, v8, v11
	v_mov_b32_e32 v8, v12
	v_fmac_f32_e32 v9, 0xbf5db3d7, v49
	v_fmac_f32_e32 v8, 0x3f5db3d7, v39
	v_mul_f32_e32 v23, 0x3f5db3d7, v9
	v_fma_f32 v14, -0.5, v14, v17
	v_fmac_f32_e32 v23, 0.5, v8
	v_mul_f32_e32 v40, 0xbf5db3d7, v8
	v_mul_u32_u24_e32 v8, 18, v20
	v_add_f32_e32 v17, v47, v50
	v_add_lshl_u32 v47, v8, v21, 3
	v_mov_b32_e32 v20, v13
	v_mov_b32_e32 v21, v14
	v_add_f32_e32 v15, v15, v10
	v_fmac_f32_e32 v40, 0.5, v9
	v_fmac_f32_e32 v20, 0x3f5db3d7, v22
	v_fmac_f32_e32 v21, 0xbf5db3d7, v19
	v_add_f32_e32 v8, v15, v18
	v_add_f32_e32 v9, v16, v17
	;; [unrolled: 1-line block ×4, first 2 shown]
	v_fmac_f32_e32 v53, 0x3f5db3d7, v49
	ds_write2_b64 v47, v[8:9], v[10:11] offset1:3
	v_sub_f32_e32 v9, v16, v17
	v_fmac_f32_e32 v12, 0xbf5db3d7, v39
	v_mul_f32_e32 v16, -0.5, v53
	v_sub_f32_e32 v8, v15, v18
	v_mul_f32_e32 v15, -0.5, v12
	v_fmac_f32_e32 v16, 0xbf5db3d7, v12
	v_mov_b32_e32 v12, 57
	v_mul_lo_u16_sdwa v12, v42, v12 dst_sel:DWORD dst_unused:UNUSED_PAD src0_sel:BYTE_0 src1_sel:DWORD
	v_fmac_f32_e32 v15, 0x3f5db3d7, v53
	v_lshrrev_b16_e32 v53, 10, v12
	v_mul_lo_u16_e32 v12, 18, v53
	v_fmac_f32_e32 v13, 0xbf5db3d7, v22
	v_fmac_f32_e32 v14, 0x3f5db3d7, v19
	v_sub_u16_e32 v12, v42, v12
	v_add_f32_e32 v10, v13, v15
	v_add_f32_e32 v11, v14, v16
	v_and_b32_e32 v54, 0xff, v12
	ds_write2_b64 v47, v[10:11], v[8:9] offset0:6 offset1:9
	v_sub_f32_e32 v11, v14, v16
	v_mad_u64_u32 v[16:17], s[12:13], v54, 40, s[10:11]
	v_sub_f32_e32 v8, v20, v23
	v_sub_f32_e32 v9, v21, v40
	;; [unrolled: 1-line block ×3, first 2 shown]
	ds_write2_b64 v47, v[8:9], v[10:11] offset0:12 offset1:15
	s_waitcnt lgkmcnt(0)
	; wave barrier
	s_waitcnt lgkmcnt(0)
	global_load_dwordx4 v[8:11], v[16:17], off offset:120
	global_load_dwordx4 v[12:15], v[16:17], off offset:136
	global_load_dwordx2 v[39:40], v[16:17], off offset:152
	ds_read2_b64 v[16:19], v43 offset0:108 offset1:162
	ds_read2_b64 v[20:23], v44 offset0:88 offset1:142
	ds_read2_b64 v[48:51], v43 offset1:54
	s_waitcnt lgkmcnt(0)
	; wave barrier
	s_waitcnt vmcnt(2) lgkmcnt(0)
	v_mul_f32_e32 v55, v17, v11
	v_mul_f32_e32 v56, v16, v11
	s_waitcnt vmcnt(1)
	v_mul_f32_e32 v57, v19, v13
	v_mul_f32_e32 v58, v18, v13
	;; [unrolled: 1-line block ×4, first 2 shown]
	s_waitcnt vmcnt(0)
	v_mul_f32_e32 v62, v22, v40
	v_mul_f32_e32 v64, v50, v9
	v_fma_f32 v16, v16, v10, -v55
	v_mul_f32_e32 v61, v23, v40
	v_mul_f32_e32 v63, v51, v9
	v_fmac_f32_e32 v56, v17, v10
	v_fma_f32 v17, v18, v12, -v57
	v_fmac_f32_e32 v58, v19, v12
	v_fma_f32 v18, v20, v14, -v59
	v_fmac_f32_e32 v60, v21, v14
	v_fmac_f32_e32 v62, v23, v39
	v_fmac_f32_e32 v64, v51, v8
	v_add_f32_e32 v23, v48, v16
	v_fma_f32 v19, v22, v39, -v61
	v_fma_f32 v20, v50, v8, -v63
	v_add_f32_e32 v21, v16, v18
	v_add_f32_e32 v22, v56, v60
	;; [unrolled: 1-line block ×3, first 2 shown]
	v_sub_f32_e32 v51, v16, v18
	v_add_f32_e32 v23, v23, v18
	v_add_f32_e32 v18, v64, v58
	v_fma_f32 v22, -0.5, v22, v49
	v_add_f32_e32 v49, v50, v60
	v_add_f32_e32 v50, v18, v62
	;; [unrolled: 1-line block ×3, first 2 shown]
	v_sub_f32_e32 v55, v56, v60
	v_add_f32_e32 v56, v17, v19
	v_fmac_f32_e32 v64, -0.5, v18
	v_add_f32_e32 v16, v20, v17
	v_fmac_f32_e32 v20, -0.5, v56
	v_sub_f32_e32 v56, v58, v62
	v_sub_f32_e32 v58, v17, v19
	v_mov_b32_e32 v17, v64
	v_add_f32_e32 v57, v16, v19
	v_mov_b32_e32 v16, v20
	v_fmac_f32_e32 v17, 0xbf5db3d7, v58
	v_fmac_f32_e32 v16, 0x3f5db3d7, v56
	v_mul_f32_e32 v59, 0x3f5db3d7, v17
	v_fma_f32 v21, -0.5, v21, v48
	v_fmac_f32_e32 v59, 0.5, v16
	v_mul_f32_e32 v60, 0xbf5db3d7, v16
	v_mul_u32_u24_e32 v16, 0x6c, v53
	v_add_lshl_u32 v48, v16, v54, 3
	v_mov_b32_e32 v53, v21
	v_mov_b32_e32 v54, v22
	v_fmac_f32_e32 v60, 0.5, v17
	v_fmac_f32_e32 v53, 0x3f5db3d7, v55
	v_fmac_f32_e32 v54, 0xbf5db3d7, v51
	v_add_f32_e32 v16, v23, v57
	v_add_f32_e32 v17, v49, v50
	;; [unrolled: 1-line block ×4, first 2 shown]
	v_fmac_f32_e32 v20, 0xbf5db3d7, v56
	v_fmac_f32_e32 v64, 0x3f5db3d7, v58
	ds_write2_b64 v48, v[16:17], v[18:19] offset1:18
	v_sub_f32_e32 v16, v23, v57
	v_sub_f32_e32 v17, v49, v50
	v_mul_f32_e32 v23, -0.5, v20
	v_mul_f32_e32 v49, -0.5, v64
	v_fmac_f32_e32 v21, 0xbf5db3d7, v55
	v_fmac_f32_e32 v22, 0x3f5db3d7, v51
	;; [unrolled: 1-line block ×4, first 2 shown]
	v_add_f32_e32 v18, v21, v23
	v_add_f32_e32 v19, v22, v49
	ds_write2_b64 v48, v[18:19], v[16:17] offset0:36 offset1:54
	v_sub_f32_e32 v16, v53, v59
	v_sub_f32_e32 v17, v54, v60
	;; [unrolled: 1-line block ×4, first 2 shown]
	ds_write2_b64 v48, v[16:17], v[18:19] offset0:72 offset1:90
	v_lshlrev_b32_e32 v16, 4, v42
	s_waitcnt lgkmcnt(0)
	; wave barrier
	s_waitcnt lgkmcnt(0)
	global_load_dwordx4 v[20:23], v16, s[10:11] offset:840
	v_lshlrev_b32_e32 v16, 4, v52
	global_load_dwordx4 v[16:19], v16, s[10:11] offset:840
	ds_read2_b64 v[49:52], v43 offset0:108 offset1:162
	ds_read2_b64 v[53:56], v44 offset0:88 offset1:142
	ds_read2_b64 v[57:60], v43 offset1:54
	s_waitcnt vmcnt(1) lgkmcnt(2)
	v_mul_f32_e32 v61, v50, v21
	v_mul_f32_e32 v62, v49, v21
	s_waitcnt vmcnt(0)
	v_mul_f32_e32 v63, v52, v17
	s_waitcnt lgkmcnt(1)
	v_mul_f32_e32 v65, v54, v23
	v_mul_f32_e32 v66, v53, v23
	;; [unrolled: 1-line block ×3, first 2 shown]
	v_fma_f32 v49, v49, v20, -v61
	v_fmac_f32_e32 v62, v50, v20
	v_fma_f32 v61, v51, v16, -v63
	v_fma_f32 v51, v53, v22, -v65
	v_fmac_f32_e32 v66, v54, v22
	v_mul_f32_e32 v67, v56, v19
	v_mul_f32_e32 v68, v55, v19
	v_fmac_f32_e32 v64, v52, v16
	v_add_f32_e32 v52, v62, v66
	s_waitcnt lgkmcnt(0)
	v_add_f32_e32 v53, v57, v49
	v_add_f32_e32 v54, v49, v51
	v_fma_f32 v63, v55, v18, -v67
	v_fmac_f32_e32 v68, v56, v18
	v_sub_f32_e32 v56, v62, v66
	v_add_f32_e32 v50, v58, v62
	v_sub_f32_e32 v62, v49, v51
	v_add_f32_e32 v55, v59, v61
	v_add_f32_e32 v49, v53, v51
	v_fma_f32 v51, -0.5, v54, v57
	v_fma_f32 v52, -0.5, v52, v58
	v_add_f32_e32 v53, v55, v63
	v_mov_b32_e32 v54, v51
	v_mov_b32_e32 v55, v52
	v_add_f32_e32 v65, v60, v64
	v_fmac_f32_e32 v54, 0x3f5db3d7, v56
	v_fmac_f32_e32 v55, 0xbf5db3d7, v62
	v_add_f32_e32 v50, v50, v66
	v_fmac_f32_e32 v51, 0xbf5db3d7, v56
	v_fmac_f32_e32 v52, 0x3f5db3d7, v62
	ds_write_b64 v43, v[54:55] offset:864
	v_add_f32_e32 v54, v65, v68
	ds_write_b64 v43, v[51:52] offset:1728
	ds_write2_b64 v43, v[49:50], v[53:54] offset1:54
	v_add_f32_e32 v49, v61, v63
	v_fma_f32 v59, -0.5, v49, v59
	v_add_f32_e32 v49, v64, v68
	v_fmac_f32_e32 v60, -0.5, v49
	v_sub_f32_e32 v51, v64, v68
	v_sub_f32_e32 v52, v61, v63
	v_mov_b32_e32 v49, v59
	v_mov_b32_e32 v50, v60
	v_fmac_f32_e32 v59, 0xbf5db3d7, v51
	v_fmac_f32_e32 v60, 0x3f5db3d7, v52
	;; [unrolled: 1-line block ×4, first 2 shown]
	ds_write_b64 v43, v[59:60] offset:2160
	ds_write_b64 v43, v[49:50] offset:1296
	s_waitcnt lgkmcnt(0)
	; wave barrier
	s_waitcnt lgkmcnt(0)
	global_load_dwordx2 v[53:54], v43, s[8:9] offset:2592
	global_load_dwordx2 v[57:58], v43, s[6:7] offset:432
	;; [unrolled: 1-line block ×6, first 2 shown]
	ds_read2_b64 v[49:52], v43 offset1:54
	s_waitcnt vmcnt(5) lgkmcnt(0)
	v_mul_f32_e32 v56, v50, v54
	v_mul_f32_e32 v55, v49, v54
	v_fma_f32 v54, v49, v53, -v56
	v_fmac_f32_e32 v55, v50, v53
	ds_write_b64 v43, v[54:55]
	s_waitcnt vmcnt(4)
	v_mul_f32_e32 v67, v52, v58
	ds_read2_b64 v[53:56], v43 offset0:108 offset1:162
	v_mul_f32_e32 v68, v51, v58
	v_fma_f32 v67, v51, v57, -v67
	v_fmac_f32_e32 v68, v52, v57
	ds_read2_b64 v[49:52], v44 offset0:88 offset1:142
	s_waitcnt vmcnt(3) lgkmcnt(1)
	v_mul_f32_e32 v57, v54, v60
	v_mul_f32_e32 v58, v53, v60
	s_waitcnt vmcnt(2)
	v_mul_f32_e32 v69, v56, v62
	v_mul_f32_e32 v60, v55, v62
	s_waitcnt vmcnt(1) lgkmcnt(0)
	v_mul_f32_e32 v70, v50, v64
	v_mul_f32_e32 v62, v49, v64
	s_waitcnt vmcnt(0)
	v_mul_f32_e32 v71, v52, v66
	v_mul_f32_e32 v64, v51, v66
	v_fma_f32 v57, v53, v59, -v57
	v_fmac_f32_e32 v58, v54, v59
	v_fma_f32 v59, v55, v61, -v69
	v_fmac_f32_e32 v60, v56, v61
	;; [unrolled: 2-line block ×4, first 2 shown]
	ds_write2_b64 v43, v[67:68], v[57:58] offset0:54 offset1:108
	ds_write2_b64 v43, v[59:60], v[61:62] offset0:162 offset1:216
	ds_write_b64 v43, v[63:64] offset:2160
	s_waitcnt lgkmcnt(0)
	; wave barrier
	s_waitcnt lgkmcnt(0)
	ds_read2_b64 v[49:52], v43 offset1:54
	ds_read2_b64 v[53:56], v43 offset0:108 offset1:162
	ds_read2_b64 v[57:60], v44 offset0:88 offset1:142
	s_waitcnt lgkmcnt(0)
	; wave barrier
	s_waitcnt lgkmcnt(0)
	v_add_f32_e32 v61, v49, v53
	v_add_f32_e32 v62, v53, v57
	;; [unrolled: 1-line block ×6, first 2 shown]
	v_fma_f32 v49, -0.5, v62, v49
	v_fma_f32 v50, -0.5, v65, v50
	v_sub_f32_e32 v63, v54, v58
	v_sub_f32_e32 v66, v53, v57
	v_add_f32_e32 v67, v51, v55
	v_sub_f32_e32 v69, v56, v60
	v_add_f32_e32 v70, v52, v56
	;; [unrolled: 2-line block ×3, first 2 shown]
	v_add_f32_e32 v54, v64, v58
	v_fma_f32 v51, -0.5, v68, v51
	v_fmac_f32_e32 v52, -0.5, v71
	v_mov_b32_e32 v57, v49
	v_mov_b32_e32 v58, v50
	v_add_f32_e32 v55, v67, v59
	v_add_f32_e32 v56, v70, v60
	v_fmac_f32_e32 v49, 0x3f5db3d7, v63
	v_fmac_f32_e32 v50, 0xbf5db3d7, v66
	v_mov_b32_e32 v59, v51
	v_mov_b32_e32 v60, v52
	v_fmac_f32_e32 v51, 0x3f5db3d7, v69
	v_fmac_f32_e32 v52, 0xbf5db3d7, v72
	;; [unrolled: 1-line block ×4, first 2 shown]
	ds_write_b64 v45, v[49:50] offset:16
	v_fmac_f32_e32 v59, 0xbf5db3d7, v69
	v_fmac_f32_e32 v60, 0x3f5db3d7, v72
	ds_write2_b64 v45, v[53:54], v[57:58] offset1:1
	ds_write2_b64 v46, v[55:56], v[59:60] offset1:1
	ds_write_b64 v46, v[51:52] offset:16
	s_waitcnt lgkmcnt(0)
	; wave barrier
	s_waitcnt lgkmcnt(0)
	ds_read2_b64 v[49:52], v44 offset0:88 offset1:142
	s_waitcnt lgkmcnt(0)
	v_mul_f32_e32 v45, v38, v52
	v_mul_f32_e32 v38, v38, v51
	v_fmac_f32_e32 v45, v37, v51
	v_fma_f32 v37, v37, v52, -v38
	ds_read2_b64 v[51:54], v43 offset0:108 offset1:162
	v_mul_f32_e32 v38, v7, v50
	v_fmac_f32_e32 v38, v6, v49
	v_mul_f32_e32 v7, v7, v49
	v_fma_f32 v46, v6, v50, -v7
	s_waitcnt lgkmcnt(0)
	v_mul_f32_e32 v49, v5, v54
	v_mul_f32_e32 v5, v5, v53
	v_fmac_f32_e32 v49, v4, v53
	v_fma_f32 v50, v4, v54, -v5
	ds_read2_b64 v[4:7], v43 offset1:54
	v_mul_f32_e32 v53, v3, v52
	v_fmac_f32_e32 v53, v2, v51
	v_mul_f32_e32 v3, v3, v51
	v_fma_f32 v2, v2, v52, -v3
	s_waitcnt lgkmcnt(0)
	v_mul_f32_e32 v51, v1, v7
	v_mul_f32_e32 v1, v1, v6
	v_fmac_f32_e32 v51, v0, v6
	v_fma_f32 v6, v0, v7, -v1
	v_add_f32_e32 v0, v53, v38
	v_fma_f32 v7, -0.5, v0, v4
	v_add_f32_e32 v0, v2, v46
	v_add_f32_e32 v1, v5, v2
	v_fma_f32 v52, -0.5, v0, v5
	v_add_f32_e32 v0, v4, v53
	v_add_f32_e32 v5, v1, v46
	v_add_f32_e32 v1, v49, v45
	v_sub_f32_e32 v4, v2, v46
	v_add_f32_e32 v46, v0, v38
	v_add_f32_e32 v0, v51, v49
	v_fmac_f32_e32 v51, -0.5, v1
	v_add_f32_e32 v1, v6, v50
	v_sub_f32_e32 v38, v53, v38
	v_add_f32_e32 v53, v1, v37
	v_add_f32_e32 v1, v50, v37
	v_fmac_f32_e32 v6, -0.5, v1
	v_sub_f32_e32 v54, v50, v37
	v_add_f32_e32 v37, v0, v45
	v_sub_f32_e32 v45, v49, v45
	v_mov_b32_e32 v1, v6
	v_mov_b32_e32 v0, v51
	v_fmac_f32_e32 v1, 0x3f5db3d7, v45
	v_fmac_f32_e32 v0, 0xbf5db3d7, v54
	v_mul_f32_e32 v49, 0xbf5db3d7, v1
	v_mul_f32_e32 v50, 0.5, v1
	v_mov_b32_e32 v55, v7
	v_mov_b32_e32 v56, v52
	v_fmac_f32_e32 v49, 0.5, v0
	v_fmac_f32_e32 v50, 0x3f5db3d7, v0
	v_fmac_f32_e32 v55, 0xbf5db3d7, v4
	;; [unrolled: 1-line block ×3, first 2 shown]
	v_add_f32_e32 v0, v46, v37
	v_add_f32_e32 v1, v5, v53
	;; [unrolled: 1-line block ×4, first 2 shown]
	v_fmac_f32_e32 v6, 0xbf5db3d7, v45
	s_waitcnt lgkmcnt(0)
	; wave barrier
	ds_write2_b64 v47, v[0:1], v[2:3] offset1:3
	v_sub_f32_e32 v1, v5, v53
	v_fmac_f32_e32 v7, 0x3f5db3d7, v4
	v_fmac_f32_e32 v51, 0x3f5db3d7, v54
	v_mul_f32_e32 v4, 0xbf5db3d7, v6
	v_mul_f32_e32 v5, -0.5, v6
	v_fmac_f32_e32 v52, 0xbf5db3d7, v38
	v_fmac_f32_e32 v4, -0.5, v51
	v_fmac_f32_e32 v5, 0x3f5db3d7, v51
	v_sub_f32_e32 v0, v46, v37
	v_add_f32_e32 v2, v7, v4
	v_add_f32_e32 v3, v52, v5
	ds_write2_b64 v47, v[2:3], v[0:1] offset0:6 offset1:9
	v_sub_f32_e32 v0, v55, v49
	v_sub_f32_e32 v1, v56, v50
	;; [unrolled: 1-line block ×4, first 2 shown]
	ds_write2_b64 v47, v[0:1], v[2:3] offset0:12 offset1:15
	s_waitcnt lgkmcnt(0)
	; wave barrier
	s_waitcnt lgkmcnt(0)
	ds_read2_b64 v[0:3], v44 offset0:88 offset1:142
	s_waitcnt lgkmcnt(0)
	v_mul_f32_e32 v37, v40, v3
	v_fmac_f32_e32 v37, v39, v2
	v_mul_f32_e32 v2, v40, v2
	v_fma_f32 v38, v39, v3, -v2
	ds_read2_b64 v[2:5], v43 offset0:108 offset1:162
	v_mul_f32_e32 v39, v15, v1
	v_fmac_f32_e32 v39, v14, v0
	v_mul_f32_e32 v0, v15, v0
	v_fma_f32 v0, v14, v1, -v0
	s_waitcnt lgkmcnt(0)
	v_mul_f32_e32 v1, v13, v5
	v_fmac_f32_e32 v1, v12, v4
	v_mul_f32_e32 v4, v13, v4
	v_fma_f32 v12, v12, v5, -v4
	ds_read2_b64 v[4:7], v43 offset1:54
	v_mul_f32_e32 v13, v11, v3
	v_fmac_f32_e32 v13, v10, v2
	v_mul_f32_e32 v2, v11, v2
	v_fma_f32 v2, v10, v3, -v2
	s_waitcnt lgkmcnt(0)
	v_mul_f32_e32 v10, v9, v7
	v_mul_f32_e32 v3, v9, v6
	v_fmac_f32_e32 v10, v8, v6
	v_fma_f32 v6, v8, v7, -v3
	v_add_f32_e32 v3, v13, v39
	v_fma_f32 v7, -0.5, v3, v4
	v_add_f32_e32 v3, v2, v0
	v_fma_f32 v8, -0.5, v3, v5
	v_add_f32_e32 v3, v4, v13
	v_add_f32_e32 v4, v5, v2
	v_sub_f32_e32 v5, v2, v0
	v_add_f32_e32 v2, v1, v37
	v_add_f32_e32 v4, v4, v0
	;; [unrolled: 1-line block ×3, first 2 shown]
	v_fmac_f32_e32 v10, -0.5, v2
	v_add_f32_e32 v2, v6, v12
	v_sub_f32_e32 v11, v13, v39
	v_add_f32_e32 v13, v2, v38
	v_add_f32_e32 v2, v12, v38
	v_fmac_f32_e32 v6, -0.5, v2
	v_sub_f32_e32 v15, v1, v37
	v_mov_b32_e32 v1, v6
	v_sub_f32_e32 v14, v12, v38
	v_add_f32_e32 v12, v0, v37
	v_mov_b32_e32 v0, v10
	v_fmac_f32_e32 v1, 0x3f5db3d7, v15
	v_add_f32_e32 v9, v3, v39
	v_fmac_f32_e32 v0, 0xbf5db3d7, v14
	v_mul_f32_e32 v37, 0xbf5db3d7, v1
	v_mul_f32_e32 v38, 0.5, v1
	v_mov_b32_e32 v39, v7
	v_mov_b32_e32 v40, v8
	v_fmac_f32_e32 v37, 0.5, v0
	v_fmac_f32_e32 v38, 0x3f5db3d7, v0
	v_fmac_f32_e32 v39, 0xbf5db3d7, v5
	;; [unrolled: 1-line block ×3, first 2 shown]
	v_add_f32_e32 v0, v9, v12
	v_add_f32_e32 v1, v4, v13
	;; [unrolled: 1-line block ×4, first 2 shown]
	v_fmac_f32_e32 v6, 0xbf5db3d7, v15
	s_waitcnt lgkmcnt(0)
	; wave barrier
	ds_write2_b64 v48, v[0:1], v[2:3] offset1:18
	v_sub_f32_e32 v1, v4, v13
	v_fmac_f32_e32 v7, 0x3f5db3d7, v5
	v_fmac_f32_e32 v10, 0x3f5db3d7, v14
	v_mul_f32_e32 v4, 0xbf5db3d7, v6
	v_mul_f32_e32 v5, -0.5, v6
	v_fmac_f32_e32 v8, 0xbf5db3d7, v11
	v_fmac_f32_e32 v4, -0.5, v10
	v_fmac_f32_e32 v5, 0x3f5db3d7, v10
	v_sub_f32_e32 v0, v9, v12
	v_add_f32_e32 v2, v7, v4
	v_add_f32_e32 v3, v8, v5
	ds_write2_b64 v48, v[2:3], v[0:1] offset0:36 offset1:54
	v_sub_f32_e32 v0, v39, v37
	v_sub_f32_e32 v1, v40, v38
	;; [unrolled: 1-line block ×4, first 2 shown]
	ds_write2_b64 v48, v[0:1], v[2:3] offset0:72 offset1:90
	s_waitcnt lgkmcnt(0)
	; wave barrier
	s_waitcnt lgkmcnt(0)
	ds_read2_b64 v[0:3], v43 offset0:108 offset1:162
	ds_read2_b64 v[4:7], v44 offset0:88 offset1:142
	s_waitcnt lgkmcnt(1)
	v_mul_f32_e32 v10, v21, v1
	v_fmac_f32_e32 v10, v20, v0
	v_mul_f32_e32 v0, v21, v0
	v_fma_f32 v11, v20, v1, -v0
	s_waitcnt lgkmcnt(0)
	v_mul_f32_e32 v0, v23, v4
	v_mul_f32_e32 v12, v23, v5
	v_fma_f32 v5, v22, v5, -v0
	v_mul_f32_e32 v13, v17, v3
	v_mul_f32_e32 v0, v17, v2
	v_fmac_f32_e32 v13, v16, v2
	v_fma_f32 v14, v16, v3, -v0
	ds_read2_b64 v[0:3], v43 offset1:54
	v_fmac_f32_e32 v12, v22, v4
	v_mul_f32_e32 v4, v19, v6
	v_fma_f32 v16, v18, v7, -v4
	v_add_f32_e32 v4, v10, v12
	s_waitcnt lgkmcnt(0)
	v_fma_f32 v4, -0.5, v4, v0
	v_add_f32_e32 v0, v0, v10
	v_add_f32_e32 v8, v0, v12
	v_add_f32_e32 v0, v1, v11
	v_mul_f32_e32 v15, v19, v7
	v_add_f32_e32 v9, v0, v5
	v_add_f32_e32 v0, v11, v5
	v_fmac_f32_e32 v15, v18, v6
	v_sub_f32_e32 v7, v11, v5
	v_mov_b32_e32 v6, v4
	v_fma_f32 v5, -0.5, v0, v1
	v_fmac_f32_e32 v6, 0xbf5db3d7, v7
	v_fmac_f32_e32 v4, 0x3f5db3d7, v7
	v_sub_f32_e32 v0, v10, v12
	v_mov_b32_e32 v7, v5
	v_fmac_f32_e32 v7, 0x3f5db3d7, v0
	v_fmac_f32_e32 v5, 0xbf5db3d7, v0
	v_add_f32_e32 v0, v13, v15
	v_add_f32_e32 v1, v2, v13
	v_fma_f32 v2, -0.5, v0, v2
	v_sub_f32_e32 v10, v14, v16
	v_mov_b32_e32 v0, v2
	v_fmac_f32_e32 v0, 0xbf5db3d7, v10
	v_fmac_f32_e32 v2, 0x3f5db3d7, v10
	v_add_f32_e32 v10, v1, v15
	v_add_f32_e32 v1, v3, v14
	;; [unrolled: 1-line block ×4, first 2 shown]
	v_fmac_f32_e32 v3, -0.5, v1
	v_sub_f32_e32 v12, v13, v15
	v_mov_b32_e32 v1, v3
	v_fmac_f32_e32 v1, 0x3f5db3d7, v12
	v_fmac_f32_e32 v3, 0xbf5db3d7, v12
	v_mad_u64_u32 v[12:13], s[6:7], s2, v28, 0
	ds_write_b64 v43, v[6:7] offset:864
	ds_write_b64 v43, v[4:5] offset:1728
	ds_write2_b64 v43, v[8:9], v[10:11] offset1:54
	ds_write_b64 v43, v[0:1] offset:1296
	ds_write_b64 v43, v[2:3] offset:2160
	s_waitcnt lgkmcnt(0)
	; wave barrier
	s_waitcnt lgkmcnt(0)
	ds_read2_b64 v[0:3], v43 offset1:54
	v_mov_b32_e32 v4, v13
	v_mad_u64_u32 v[4:5], s[2:3], s3, v28, v[4:5]
	s_mov_b32 s2, 0xfcd6e9e0
	s_waitcnt lgkmcnt(0)
	v_mul_f32_e32 v5, v34, v1
	v_fmac_f32_e32 v5, v33, v0
	v_cvt_f64_f32_e32 v[5:6], v5
	s_mov_b32 s3, 0x3f6948b0
	v_mul_f32_e32 v0, v34, v0
	v_fma_f32 v0, v33, v1, -v0
	v_mul_f64 v[5:6], v[5:6], s[2:3]
	v_cvt_f64_f32_e32 v[0:1], v0
	v_mad_u64_u32 v[8:9], s[6:7], s0, v42, 0
	v_mov_b32_e32 v13, v4
	v_mul_f64 v[0:1], v[0:1], s[2:3]
	v_mov_b32_e32 v4, v9
	v_mov_b32_e32 v14, s5
	v_mad_u64_u32 v[9:10], s[6:7], s1, v42, v[4:5]
	v_cvt_f32_f64_e32 v10, v[5:6]
	ds_read2_b64 v[4:7], v43 offset0:108 offset1:162
	v_lshlrev_b64 v[8:9], 3, v[8:9]
	v_cvt_f32_f64_e32 v11, v[0:1]
	v_lshlrev_b64 v[0:1], 3, v[12:13]
	s_mul_hi_u32 s5, s0, 0x360
	s_waitcnt lgkmcnt(0)
	v_mul_f32_e32 v12, v36, v5
	v_fmac_f32_e32 v12, v35, v4
	v_mul_f32_e32 v4, v36, v4
	v_fma_f32 v4, v35, v5, -v4
	v_cvt_f64_f32_e32 v[12:13], v12
	v_cvt_f64_f32_e32 v[4:5], v4
	v_add_co_u32_e32 v15, vcc, s4, v0
	v_addc_co_u32_e32 v14, vcc, v14, v1, vcc
	v_mul_f64 v[0:1], v[12:13], s[2:3]
	v_mul_f64 v[4:5], v[4:5], s[2:3]
	v_add_co_u32_e32 v12, vcc, v15, v8
	v_addc_co_u32_e32 v13, vcc, v14, v9, vcc
	global_store_dwordx2 v[12:13], v[10:11], off
	ds_read2_b64 v[8:11], v44 offset0:88 offset1:142
	v_cvt_f32_f64_e32 v0, v[0:1]
	v_cvt_f32_f64_e32 v1, v[4:5]
	s_mul_i32 s4, s1, 0x360
	s_add_i32 s6, s5, s4
	s_waitcnt lgkmcnt(0)
	v_mul_f32_e32 v4, v30, v9
	v_fmac_f32_e32 v4, v29, v8
	v_mul_f32_e32 v8, v30, v8
	v_fma_f32 v8, v29, v9, -v8
	v_cvt_f64_f32_e32 v[4:5], v4
	v_cvt_f64_f32_e32 v[8:9], v8
	s_mul_i32 s7, s0, 0x360
	v_mov_b32_e32 v14, s6
	v_add_co_u32_e32 v12, vcc, s7, v12
	v_addc_co_u32_e32 v13, vcc, v13, v14, vcc
	global_store_dwordx2 v[12:13], v[0:1], off
	v_mul_f64 v[0:1], v[4:5], s[2:3]
	v_mul_f64 v[4:5], v[8:9], s[2:3]
	v_mul_f32_e32 v8, v32, v3
	v_fmac_f32_e32 v8, v31, v2
	v_cvt_f64_f32_e32 v[8:9], v8
	v_mul_f32_e32 v2, v32, v2
	v_fma_f32 v2, v31, v3, -v2
	v_cvt_f64_f32_e32 v[2:3], v2
	v_cvt_f32_f64_e32 v0, v[0:1]
	v_cvt_f32_f64_e32 v1, v[4:5]
	v_mul_f64 v[4:5], v[8:9], s[2:3]
	v_mul_f64 v[2:3], v[2:3], s[2:3]
	v_mov_b32_e32 v9, s6
	v_add_co_u32_e32 v8, vcc, s7, v12
	v_addc_co_u32_e32 v9, vcc, v13, v9, vcc
	global_store_dwordx2 v[8:9], v[0:1], off
	v_cvt_f32_f64_e32 v0, v[4:5]
	v_mul_f32_e32 v4, v27, v7
	v_fmac_f32_e32 v4, v26, v6
	v_mul_f32_e32 v6, v27, v6
	v_cvt_f32_f64_e32 v1, v[2:3]
	v_mad_u64_u32 v[2:3], s[4:5], s0, v41, v[8:9]
	v_fma_f32 v6, v26, v7, -v6
	v_cvt_f64_f32_e32 v[4:5], v4
	v_cvt_f64_f32_e32 v[6:7], v6
	s_mulk_i32 s1, 0xfaf0
	s_sub_i32 s0, s1, s0
	v_add_u32_e32 v3, s0, v3
	global_store_dwordx2 v[2:3], v[0:1], off
	v_mul_f64 v[0:1], v[4:5], s[2:3]
	v_mul_f64 v[4:5], v[6:7], s[2:3]
	v_mul_f32_e32 v6, v25, v11
	v_mul_f32_e32 v8, v25, v10
	v_fmac_f32_e32 v6, v24, v10
	v_fma_f32 v8, v24, v11, -v8
	v_cvt_f64_f32_e32 v[6:7], v6
	v_cvt_f64_f32_e32 v[8:9], v8
	v_cvt_f32_f64_e32 v0, v[0:1]
	v_cvt_f32_f64_e32 v1, v[4:5]
	v_mul_f64 v[4:5], v[6:7], s[2:3]
	v_mul_f64 v[6:7], v[8:9], s[2:3]
	v_mov_b32_e32 v8, s6
	v_add_co_u32_e32 v2, vcc, s7, v2
	v_addc_co_u32_e32 v3, vcc, v3, v8, vcc
	global_store_dwordx2 v[2:3], v[0:1], off
	v_cvt_f32_f64_e32 v0, v[4:5]
	v_cvt_f32_f64_e32 v1, v[6:7]
	v_mov_b32_e32 v4, s6
	v_add_co_u32_e32 v2, vcc, s7, v2
	v_addc_co_u32_e32 v3, vcc, v3, v4, vcc
	global_store_dwordx2 v[2:3], v[0:1], off
.LBB0_2:
	s_endpgm
	.section	.rodata,"a",@progbits
	.p2align	6, 0x0
	.amdhsa_kernel bluestein_single_fwd_len324_dim1_sp_op_CI_CI
		.amdhsa_group_segment_fixed_size 2592
		.amdhsa_private_segment_fixed_size 0
		.amdhsa_kernarg_size 104
		.amdhsa_user_sgpr_count 6
		.amdhsa_user_sgpr_private_segment_buffer 1
		.amdhsa_user_sgpr_dispatch_ptr 0
		.amdhsa_user_sgpr_queue_ptr 0
		.amdhsa_user_sgpr_kernarg_segment_ptr 1
		.amdhsa_user_sgpr_dispatch_id 0
		.amdhsa_user_sgpr_flat_scratch_init 0
		.amdhsa_user_sgpr_private_segment_size 0
		.amdhsa_uses_dynamic_stack 0
		.amdhsa_system_sgpr_private_segment_wavefront_offset 0
		.amdhsa_system_sgpr_workgroup_id_x 1
		.amdhsa_system_sgpr_workgroup_id_y 0
		.amdhsa_system_sgpr_workgroup_id_z 0
		.amdhsa_system_sgpr_workgroup_info 0
		.amdhsa_system_vgpr_workitem_id 0
		.amdhsa_next_free_vgpr 73
		.amdhsa_next_free_sgpr 20
		.amdhsa_reserve_vcc 1
		.amdhsa_reserve_flat_scratch 0
		.amdhsa_float_round_mode_32 0
		.amdhsa_float_round_mode_16_64 0
		.amdhsa_float_denorm_mode_32 3
		.amdhsa_float_denorm_mode_16_64 3
		.amdhsa_dx10_clamp 1
		.amdhsa_ieee_mode 1
		.amdhsa_fp16_overflow 0
		.amdhsa_exception_fp_ieee_invalid_op 0
		.amdhsa_exception_fp_denorm_src 0
		.amdhsa_exception_fp_ieee_div_zero 0
		.amdhsa_exception_fp_ieee_overflow 0
		.amdhsa_exception_fp_ieee_underflow 0
		.amdhsa_exception_fp_ieee_inexact 0
		.amdhsa_exception_int_div_zero 0
	.end_amdhsa_kernel
	.text
.Lfunc_end0:
	.size	bluestein_single_fwd_len324_dim1_sp_op_CI_CI, .Lfunc_end0-bluestein_single_fwd_len324_dim1_sp_op_CI_CI
                                        ; -- End function
	.section	.AMDGPU.csdata,"",@progbits
; Kernel info:
; codeLenInByte = 4556
; NumSgprs: 24
; NumVgprs: 73
; ScratchSize: 0
; MemoryBound: 0
; FloatMode: 240
; IeeeMode: 1
; LDSByteSize: 2592 bytes/workgroup (compile time only)
; SGPRBlocks: 2
; VGPRBlocks: 18
; NumSGPRsForWavesPerEU: 24
; NumVGPRsForWavesPerEU: 73
; Occupancy: 3
; WaveLimiterHint : 1
; COMPUTE_PGM_RSRC2:SCRATCH_EN: 0
; COMPUTE_PGM_RSRC2:USER_SGPR: 6
; COMPUTE_PGM_RSRC2:TRAP_HANDLER: 0
; COMPUTE_PGM_RSRC2:TGID_X_EN: 1
; COMPUTE_PGM_RSRC2:TGID_Y_EN: 0
; COMPUTE_PGM_RSRC2:TGID_Z_EN: 0
; COMPUTE_PGM_RSRC2:TIDIG_COMP_CNT: 0
	.type	__hip_cuid_4752a426a6607e8a,@object ; @__hip_cuid_4752a426a6607e8a
	.section	.bss,"aw",@nobits
	.globl	__hip_cuid_4752a426a6607e8a
__hip_cuid_4752a426a6607e8a:
	.byte	0                               ; 0x0
	.size	__hip_cuid_4752a426a6607e8a, 1

	.ident	"AMD clang version 19.0.0git (https://github.com/RadeonOpenCompute/llvm-project roc-6.4.0 25133 c7fe45cf4b819c5991fe208aaa96edf142730f1d)"
	.section	".note.GNU-stack","",@progbits
	.addrsig
	.addrsig_sym __hip_cuid_4752a426a6607e8a
	.amdgpu_metadata
---
amdhsa.kernels:
  - .args:
      - .actual_access:  read_only
        .address_space:  global
        .offset:         0
        .size:           8
        .value_kind:     global_buffer
      - .actual_access:  read_only
        .address_space:  global
        .offset:         8
        .size:           8
        .value_kind:     global_buffer
      - .actual_access:  read_only
        .address_space:  global
        .offset:         16
        .size:           8
        .value_kind:     global_buffer
      - .actual_access:  read_only
        .address_space:  global
        .offset:         24
        .size:           8
        .value_kind:     global_buffer
      - .actual_access:  read_only
        .address_space:  global
        .offset:         32
        .size:           8
        .value_kind:     global_buffer
      - .offset:         40
        .size:           8
        .value_kind:     by_value
      - .address_space:  global
        .offset:         48
        .size:           8
        .value_kind:     global_buffer
      - .address_space:  global
        .offset:         56
        .size:           8
        .value_kind:     global_buffer
      - .address_space:  global
        .offset:         64
        .size:           8
        .value_kind:     global_buffer
      - .address_space:  global
        .offset:         72
        .size:           8
        .value_kind:     global_buffer
      - .offset:         80
        .size:           4
        .value_kind:     by_value
      - .address_space:  global
        .offset:         88
        .size:           8
        .value_kind:     global_buffer
      - .address_space:  global
        .offset:         96
        .size:           8
        .value_kind:     global_buffer
    .group_segment_fixed_size: 2592
    .kernarg_segment_align: 8
    .kernarg_segment_size: 104
    .language:       OpenCL C
    .language_version:
      - 2
      - 0
    .max_flat_workgroup_size: 54
    .name:           bluestein_single_fwd_len324_dim1_sp_op_CI_CI
    .private_segment_fixed_size: 0
    .sgpr_count:     24
    .sgpr_spill_count: 0
    .symbol:         bluestein_single_fwd_len324_dim1_sp_op_CI_CI.kd
    .uniform_work_group_size: 1
    .uses_dynamic_stack: false
    .vgpr_count:     73
    .vgpr_spill_count: 0
    .wavefront_size: 64
amdhsa.target:   amdgcn-amd-amdhsa--gfx906
amdhsa.version:
  - 1
  - 2
...

	.end_amdgpu_metadata
